;; amdgpu-corpus repo=ROCm/rocFFT kind=compiled arch=gfx1030 opt=O3
	.text
	.amdgcn_target "amdgcn-amd-amdhsa--gfx1030"
	.amdhsa_code_object_version 6
	.protected	bluestein_single_fwd_len1944_dim1_dp_op_CI_CI ; -- Begin function bluestein_single_fwd_len1944_dim1_dp_op_CI_CI
	.globl	bluestein_single_fwd_len1944_dim1_dp_op_CI_CI
	.p2align	8
	.type	bluestein_single_fwd_len1944_dim1_dp_op_CI_CI,@function
bluestein_single_fwd_len1944_dim1_dp_op_CI_CI: ; @bluestein_single_fwd_len1944_dim1_dp_op_CI_CI
; %bb.0:
	s_load_dwordx4 s[8:11], s[4:5], 0x28
	v_mul_u32_u24_e32 v1, 0x10e, v0
	v_mov_b32_e32 v185, 0
	s_mov_b32 s0, exec_lo
	v_lshrrev_b32_e32 v1, 16, v1
	v_add_nc_u32_e32 v184, s6, v1
	s_waitcnt lgkmcnt(0)
	v_cmpx_gt_u64_e64 s[8:9], v[184:185]
	s_cbranch_execz .LBB0_47
; %bb.1:
	s_clause 0x1
	s_load_dwordx4 s[0:3], s[4:5], 0x18
	s_load_dwordx2 s[6:7], s[4:5], 0x0
	v_mul_lo_u16 v1, 0xf3, v1
	v_sub_nc_u16 v74, v0, v1
	v_and_b32_e32 v188, 0xffff, v74
	v_lshlrev_b32_e32 v185, 4, v188
	s_waitcnt lgkmcnt(0)
	s_load_dwordx4 s[12:15], s[0:1], 0x0
	v_add_co_u32 v186, s0, s6, v185
	v_add_co_ci_u32_e64 v187, null, s7, 0, s0
	global_load_dwordx4 v[0:3], v185, s[6:7]
	v_add_co_u32 v4, vcc_lo, 0x2800, v186
	v_add_co_ci_u32_e32 v5, vcc_lo, 0, v187, vcc_lo
	v_add_co_u32 v6, vcc_lo, 0x5000, v186
	v_add_co_ci_u32_e32 v7, vcc_lo, 0, v187, vcc_lo
	v_add_co_u32 v20, vcc_lo, 0x800, v186
	v_add_co_ci_u32_e32 v21, vcc_lo, 0, v187, vcc_lo
	v_add_co_u32 v22, vcc_lo, 0x3000, v186
	s_waitcnt lgkmcnt(0)
	v_mad_u64_u32 v[16:17], null, s14, v184, 0
	v_mad_u64_u32 v[18:19], null, s12, v188, 0
	v_add_co_ci_u32_e32 v23, vcc_lo, 0, v187, vcc_lo
	v_add_co_u32 v46, vcc_lo, 0x6000, v186
	v_mov_b32_e32 v8, v17
	v_add_co_ci_u32_e32 v47, vcc_lo, 0, v187, vcc_lo
	v_mov_b32_e32 v9, v19
	s_mul_i32 s1, s13, 0x288
	s_mul_hi_u32 s7, s12, 0x288
	s_mul_i32 s0, s12, 0x288
	s_mul_hi_u32 s9, s12, 0xfffffbe3
	v_mad_u64_u32 v[24:25], null, s15, v184, v[8:9]
	v_mad_u64_u32 v[25:26], null, s13, v188, v[9:10]
	s_add_i32 s1, s7, s1
	s_mul_i32 s8, s13, 0xfffffbe3
	s_mul_i32 s6, s12, 0xfffffbe3
	s_sub_i32 s7, s9, s12
	v_mov_b32_e32 v17, v24
	s_lshl_b64 s[12:13], s[0:1], 4
	v_mov_b32_e32 v19, v25
	s_clause 0x2
	global_load_dwordx4 v[12:15], v[4:5], off offset:128
	global_load_dwordx4 v[8:11], v[6:7], off offset:256
	;; [unrolled: 1-line block ×3, first 2 shown]
	v_lshlrev_b64 v[16:17], 4, v[16:17]
	s_add_i32 s7, s7, s8
	v_lshlrev_b64 v[18:19], 4, v[18:19]
	s_lshl_b64 s[0:1], s[6:7], 4
	v_add_co_u32 v16, vcc_lo, s10, v16
	v_add_co_ci_u32_e32 v17, vcc_lo, s11, v17, vcc_lo
	v_add_co_u32 v16, vcc_lo, v16, v18
	v_add_co_ci_u32_e32 v17, vcc_lo, v17, v19, vcc_lo
	;; [unrolled: 2-line block ×3, first 2 shown]
	s_clause 0x1
	global_load_dwordx4 v[26:29], v[16:17], off
	global_load_dwordx4 v[30:33], v[18:19], off
	v_add_co_u32 v20, vcc_lo, v18, s12
	v_add_co_ci_u32_e32 v21, vcc_lo, s13, v19, vcc_lo
	v_add_co_u32 v38, vcc_lo, v20, s0
	v_add_co_ci_u32_e32 v39, vcc_lo, s1, v21, vcc_lo
	global_load_dwordx4 v[34:37], v[20:21], off
	v_add_co_u32 v16, vcc_lo, v38, s12
	v_add_co_ci_u32_e32 v17, vcc_lo, s13, v39, vcc_lo
	v_add_co_u32 v24, vcc_lo, v16, s12
	v_add_co_ci_u32_e32 v25, vcc_lo, s13, v17, vcc_lo
	s_clause 0x1
	global_load_dwordx4 v[38:41], v[38:39], off
	global_load_dwordx4 v[42:45], v[16:17], off
	s_clause 0x1
	global_load_dwordx4 v[16:19], v[22:23], off offset:1968
	global_load_dwordx4 v[20:23], v[46:47], off offset:48
	global_load_dwordx4 v[46:49], v[24:25], off
	s_load_dwordx2 s[6:7], s[4:5], 0x38
	s_load_dwordx4 s[8:11], s[2:3], 0x0
	v_cmp_gt_u16_e32 vcc_lo, 0xa2, v74
	s_waitcnt vmcnt(7)
	v_mul_f64 v[50:51], v[28:29], v[2:3]
	v_mul_f64 v[52:53], v[26:27], v[2:3]
	s_waitcnt vmcnt(6)
	v_mul_f64 v[54:55], v[32:33], v[14:15]
	v_mul_f64 v[56:57], v[30:31], v[14:15]
	;; [unrolled: 3-line block ×6, first 2 shown]
	v_fma_f64 v[26:27], v[26:27], v[0:1], v[50:51]
	v_fma_f64 v[28:29], v[28:29], v[0:1], -v[52:53]
	v_fma_f64 v[30:31], v[30:31], v[12:13], v[54:55]
	v_fma_f64 v[32:33], v[32:33], v[12:13], -v[56:57]
	ds_write_b128 v185, v[26:29]
	ds_write_b128 v185, v[30:33] offset:10368
	v_fma_f64 v[34:35], v[34:35], v[8:9], v[58:59]
	v_fma_f64 v[36:37], v[36:37], v[8:9], -v[60:61]
	v_fma_f64 v[38:39], v[38:39], v[4:5], v[62:63]
	v_fma_f64 v[40:41], v[40:41], v[4:5], -v[64:65]
	;; [unrolled: 2-line block ×4, first 2 shown]
	ds_write_b128 v185, v[34:37] offset:20736
	ds_write_b128 v185, v[38:41] offset:3888
	;; [unrolled: 1-line block ×4, first 2 shown]
	s_and_saveexec_b32 s2, vcc_lo
	s_cbranch_execz .LBB0_3
; %bb.2:
	v_add_co_u32 v28, s0, v24, s0
	v_add_co_ci_u32_e64 v29, s0, s1, v25, s0
	v_add_co_u32 v30, s0, 0x1800, v186
	v_add_co_ci_u32_e64 v31, s0, 0, v187, s0
	;; [unrolled: 2-line block ×5, first 2 shown]
	v_add_co_u32 v44, s0, v32, s12
	global_load_dwordx4 v[24:27], v[28:29], off
	v_add_co_ci_u32_e64 v45, s0, s13, v33, s0
	global_load_dwordx4 v[28:31], v[30:31], off offset:1632
	global_load_dwordx4 v[32:35], v[32:33], off
	s_clause 0x1
	global_load_dwordx4 v[36:39], v[36:37], off offset:1760
	global_load_dwordx4 v[40:43], v[40:41], off offset:1888
	global_load_dwordx4 v[44:47], v[44:45], off
	s_waitcnt vmcnt(4)
	v_mul_f64 v[48:49], v[26:27], v[30:31]
	v_mul_f64 v[30:31], v[24:25], v[30:31]
	s_waitcnt vmcnt(2)
	v_mul_f64 v[50:51], v[34:35], v[38:39]
	v_mul_f64 v[38:39], v[32:33], v[38:39]
	;; [unrolled: 3-line block ×3, first 2 shown]
	v_fma_f64 v[24:25], v[24:25], v[28:29], v[48:49]
	v_fma_f64 v[26:27], v[26:27], v[28:29], -v[30:31]
	v_fma_f64 v[28:29], v[32:33], v[36:37], v[50:51]
	v_fma_f64 v[30:31], v[34:35], v[36:37], -v[38:39]
	;; [unrolled: 2-line block ×3, first 2 shown]
	ds_write_b128 v185, v[24:27] offset:7776
	ds_write_b128 v185, v[28:31] offset:18144
	;; [unrolled: 1-line block ×3, first 2 shown]
.LBB0_3:
	s_or_b32 exec_lo, exec_lo, s2
	s_waitcnt lgkmcnt(0)
	s_barrier
	buffer_gl0_inv
	ds_read_b128 v[36:39], v185
	ds_read_b128 v[32:35], v185 offset:3888
	ds_read_b128 v[48:51], v185 offset:10368
	;; [unrolled: 1-line block ×5, first 2 shown]
                                        ; implicit-def: $vgpr52_vgpr53
                                        ; implicit-def: $vgpr56_vgpr57
                                        ; implicit-def: $vgpr44_vgpr45
	s_and_saveexec_b32 s0, vcc_lo
	s_cbranch_execz .LBB0_5
; %bb.4:
	ds_read_b128 v[44:47], v185 offset:7776
	ds_read_b128 v[52:55], v185 offset:18144
	;; [unrolled: 1-line block ×3, first 2 shown]
.LBB0_5:
	s_or_b32 exec_lo, exec_lo, s0
	s_waitcnt lgkmcnt(1)
	v_add_f64 v[62:63], v[50:51], v[30:31]
	s_waitcnt lgkmcnt(0)
	v_add_f64 v[64:65], v[40:41], v[24:25]
	v_add_f64 v[66:67], v[42:43], v[26:27]
	;; [unrolled: 1-line block ×6, first 2 shown]
	v_add_f64 v[74:75], v[50:51], -v[30:31]
	v_add_f64 v[50:51], v[38:39], v[50:51]
	v_add_f64 v[78:79], v[34:35], v[42:43]
	;; [unrolled: 1-line block ×4, first 2 shown]
	v_add_f64 v[42:43], v[42:43], -v[26:27]
	v_add_f64 v[54:55], v[54:55], -v[58:59]
	;; [unrolled: 1-line block ×3, first 2 shown]
	v_add_f64 v[76:77], v[32:33], v[40:41]
	s_mov_b32 s0, 0xe8584caa
	s_load_dwordx2 s[2:3], s[4:5], 0x8
	s_mov_b32 s1, 0x3febb67a
	s_mov_b32 s5, 0xbfebb67a
	;; [unrolled: 1-line block ×3, first 2 shown]
	s_waitcnt lgkmcnt(0)
	v_fma_f64 v[38:39], v[62:63], -0.5, v[38:39]
	v_fma_f64 v[62:63], v[64:65], -0.5, v[32:33]
	v_add_f64 v[64:65], v[40:41], -v[24:25]
	v_fma_f64 v[66:67], v[66:67], -0.5, v[34:35]
	v_fma_f64 v[68:69], v[68:69], -0.5, v[44:45]
	;; [unrolled: 1-line block ×4, first 2 shown]
	v_add_f64 v[60:61], v[48:49], -v[28:29]
	v_add_f64 v[28:29], v[72:73], v[28:29]
	v_add_f64 v[30:31], v[50:51], v[30:31]
	;; [unrolled: 1-line block ×5, first 2 shown]
	v_mov_b32_e32 v57, 4
	s_barrier
	v_add_f64 v[24:25], v[76:77], v[24:25]
	buffer_gl0_inv
	v_fma_f64 v[40:41], v[42:43], s[0:1], v[62:63]
	v_fma_f64 v[44:45], v[42:43], s[4:5], v[62:63]
	;; [unrolled: 1-line block ×12, first 2 shown]
	v_add_co_u32 v132, s0, 0xf3, v188
	v_add_co_ci_u32_e64 v56, null, 0, 0, s0
	v_mul_lo_u16 v56, v188, 3
	v_add_co_u32 v140, s0, 0x1e6, v188
	v_mul_u32_u24_e32 v58, 3, v132
	v_add_co_ci_u32_e64 v141, null, 0, 0, s0
	v_lshlrev_b32_sdwa v191, v57, v56 dst_sel:DWORD dst_unused:UNUSED_PAD src0_sel:DWORD src1_sel:WORD_0
	v_mul_u32_u24_e32 v190, 3, v140
	v_lshlrev_b32_e32 v189, 4, v58
	ds_write_b128 v191, v[28:31]
	ds_write_b128 v191, v[32:35] offset:16
	ds_write_b128 v191, v[36:39] offset:32
	ds_write_b128 v189, v[24:27]
	ds_write_b128 v189, v[40:43] offset:16
	ds_write_b128 v189, v[44:47] offset:32
	s_and_saveexec_b32 s0, vcc_lo
	s_cbranch_execz .LBB0_7
; %bb.6:
	v_lshlrev_b32_e32 v24, 4, v190
	ds_write_b128 v24, v[48:51]
	ds_write_b128 v24, v[52:55] offset:16
	ds_write_b128 v24, v[64:67] offset:32
.LBB0_7:
	s_or_b32 exec_lo, exec_lo, s0
	s_waitcnt lgkmcnt(0)
	s_barrier
	buffer_gl0_inv
	ds_read_b128 v[60:63], v185
	ds_read_b128 v[56:59], v185 offset:3888
	ds_read_b128 v[76:79], v185 offset:10368
	;; [unrolled: 1-line block ×5, first 2 shown]
	s_and_saveexec_b32 s0, vcc_lo
	s_cbranch_execz .LBB0_9
; %bb.8:
	ds_read_b128 v[48:51], v185 offset:7776
	ds_read_b128 v[52:55], v185 offset:18144
	;; [unrolled: 1-line block ×3, first 2 shown]
.LBB0_9:
	s_or_b32 exec_lo, exec_lo, s0
	v_and_b32_e32 v133, 0xff, v188
	v_mov_b32_e32 v24, 0xaaab
	v_mov_b32_e32 v92, 4
	s_mov_b32 s0, 0xe8584caa
	s_mov_b32 s1, 0x3febb67a
	v_mul_lo_u16 v25, 0xab, v133
	v_mul_u32_u24_sdwa v26, v132, v24 dst_sel:DWORD dst_unused:UNUSED_PAD src0_sel:WORD_0 src1_sel:DWORD
	v_mul_u32_u24_sdwa v24, v140, v24 dst_sel:DWORD dst_unused:UNUSED_PAD src0_sel:WORD_0 src1_sel:DWORD
	s_mov_b32 s4, s0
	v_lshrrev_b16 v111, 9, v25
	v_lshrrev_b32_e32 v112, 17, v26
	v_lshrrev_b32_e32 v113, 17, v24
	v_mul_lo_u16 v25, v111, 3
	v_mul_lo_u16 v24, v112, 3
	;; [unrolled: 1-line block ×3, first 2 shown]
	v_sub_nc_u16 v25, v188, v25
	v_sub_nc_u16 v114, v132, v24
	;; [unrolled: 1-line block ×3, first 2 shown]
	v_and_b32_e32 v115, 0xff, v25
	v_lshlrev_b16 v24, 1, v114
	v_lshlrev_b16 v26, 1, v116
	v_mad_u16 v192, v113, 9, v116
	v_lshlrev_b32_e32 v25, 5, v115
	v_lshlrev_b32_sdwa v24, v92, v24 dst_sel:DWORD dst_unused:UNUSED_PAD src0_sel:DWORD src1_sel:WORD_0
	v_lshlrev_b32_sdwa v40, v92, v26 dst_sel:DWORD dst_unused:UNUSED_PAD src0_sel:DWORD src1_sel:WORD_0
	s_clause 0x5
	global_load_dwordx4 v[36:39], v25, s[2:3]
	global_load_dwordx4 v[32:35], v25, s[2:3] offset:16
	global_load_dwordx4 v[28:31], v24, s[2:3]
	global_load_dwordx4 v[24:27], v24, s[2:3] offset:16
	global_load_dwordx4 v[44:47], v40, s[2:3]
	global_load_dwordx4 v[40:43], v40, s[2:3] offset:16
	s_waitcnt vmcnt(0) lgkmcnt(0)
	s_barrier
	buffer_gl0_inv
	v_mul_f64 v[93:94], v[70:71], v[30:31]
	v_mul_f64 v[84:85], v[78:79], v[38:39]
	;; [unrolled: 1-line block ×12, first 2 shown]
	v_fma_f64 v[68:69], v[68:69], v[28:29], -v[93:94]
	v_fma_f64 v[76:77], v[76:77], v[36:37], -v[84:85]
	;; [unrolled: 1-line block ×3, first 2 shown]
	v_fma_f64 v[78:79], v[78:79], v[36:37], v[88:89]
	v_fma_f64 v[82:83], v[82:83], v[32:33], v[90:91]
	v_fma_f64 v[72:73], v[72:73], v[24:25], -v[95:96]
	v_fma_f64 v[70:71], v[70:71], v[28:29], v[97:98]
	v_fma_f64 v[74:75], v[74:75], v[24:25], v[99:100]
	v_fma_f64 v[52:53], v[52:53], v[44:45], -v[101:102]
	v_fma_f64 v[64:65], v[64:65], v[40:41], -v[103:104]
	v_fma_f64 v[54:55], v[54:55], v[44:45], v[105:106]
	v_fma_f64 v[66:67], v[66:67], v[40:41], v[107:108]
	v_add_f64 v[101:102], v[56:57], v[68:69]
	v_add_f64 v[97:98], v[60:61], v[76:77]
	;; [unrolled: 1-line block ×3, first 2 shown]
	v_add_f64 v[76:77], v[76:77], -v[80:81]
	v_add_f64 v[86:87], v[78:79], v[82:83]
	v_add_f64 v[88:89], v[68:69], v[72:73]
	v_add_f64 v[99:100], v[78:79], -v[82:83]
	v_add_f64 v[90:91], v[70:71], v[74:75]
	v_add_f64 v[78:79], v[62:63], v[78:79]
	;; [unrolled: 1-line block ×7, first 2 shown]
	v_add_f64 v[70:71], v[70:71], -v[74:75]
	v_add_f64 v[109:110], v[52:53], -v[64:65]
	v_add_f64 v[52:53], v[101:102], v[72:73]
	v_fma_f64 v[60:61], v[84:85], -0.5, v[60:61]
	v_fma_f64 v[62:63], v[86:87], -0.5, v[62:63]
	;; [unrolled: 1-line block ×3, first 2 shown]
	v_add_f64 v[86:87], v[68:69], -v[72:73]
	v_fma_f64 v[88:89], v[90:91], -0.5, v[58:59]
	v_add_f64 v[90:91], v[54:55], -v[66:67]
	v_fma_f64 v[93:94], v[93:94], -0.5, v[48:49]
	v_add_f64 v[48:49], v[97:98], v[80:81]
	v_fma_f64 v[95:96], v[95:96], -0.5, v[50:51]
	v_add_f64 v[50:51], v[78:79], v[82:83]
	v_add_f64 v[54:55], v[103:104], v[74:75]
	;; [unrolled: 1-line block ×4, first 2 shown]
	v_fma_f64 v[56:57], v[99:100], s[0:1], v[60:61]
	v_fma_f64 v[60:61], v[99:100], s[4:5], v[60:61]
	;; [unrolled: 1-line block ×12, first 2 shown]
	v_mov_b32_e32 v76, 9
	v_mad_u16 v77, v112, 9, v114
	v_mul_u32_u24_sdwa v76, v111, v76 dst_sel:DWORD dst_unused:UNUSED_PAD src0_sel:WORD_0 src1_sel:DWORD
	v_lshlrev_b32_sdwa v193, v92, v77 dst_sel:DWORD dst_unused:UNUSED_PAD src0_sel:DWORD src1_sel:WORD_0
	v_add_lshl_u32 v194, v76, v115, 4
	ds_write_b128 v194, v[48:51]
	ds_write_b128 v194, v[56:59] offset:48
	ds_write_b128 v194, v[60:63] offset:96
	ds_write_b128 v193, v[52:55]
	ds_write_b128 v193, v[64:67] offset:48
	ds_write_b128 v193, v[68:71] offset:96
	s_and_saveexec_b32 s0, vcc_lo
	s_cbranch_execz .LBB0_11
; %bb.10:
	v_lshlrev_b32_sdwa v48, v92, v192 dst_sel:DWORD dst_unused:UNUSED_PAD src0_sel:DWORD src1_sel:WORD_0
	ds_write_b128 v48, v[72:75]
	ds_write_b128 v48, v[84:87] offset:48
	ds_write_b128 v48, v[88:91] offset:96
.LBB0_11:
	s_or_b32 exec_lo, exec_lo, s0
	s_waitcnt lgkmcnt(0)
	s_barrier
	buffer_gl0_inv
	ds_read_b128 v[80:83], v185
	ds_read_b128 v[76:79], v185 offset:3888
	ds_read_b128 v[100:103], v185 offset:10368
	;; [unrolled: 1-line block ×5, first 2 shown]
	s_and_saveexec_b32 s0, vcc_lo
	s_cbranch_execz .LBB0_13
; %bb.12:
	ds_read_b128 v[72:75], v185 offset:7776
	ds_read_b128 v[84:87], v185 offset:18144
	ds_read_b128 v[88:91], v185 offset:28512
.LBB0_13:
	s_or_b32 exec_lo, exec_lo, s0
	v_mov_b32_e32 v48, 0xe38f
	v_mul_lo_u16 v49, v133, 57
	v_mul_u32_u24_sdwa v50, v132, v48 dst_sel:DWORD dst_unused:UNUSED_PAD src0_sel:WORD_0 src1_sel:DWORD
	v_mul_u32_u24_sdwa v48, v140, v48 dst_sel:DWORD dst_unused:UNUSED_PAD src0_sel:WORD_0 src1_sel:DWORD
	v_lshrrev_b16 v142, 9, v49
	v_lshrrev_b32_e32 v143, 19, v50
	v_lshrrev_b32_e32 v144, 19, v48
	v_mul_lo_u16 v49, v142, 9
	v_mul_lo_u16 v48, v143, 9
	;; [unrolled: 1-line block ×3, first 2 shown]
	v_sub_nc_u16 v49, v188, v49
	v_sub_nc_u16 v145, v132, v48
	;; [unrolled: 1-line block ×3, first 2 shown]
	v_and_b32_e32 v146, 0xff, v49
	v_lshlrev_b16 v48, 5, v145
	v_lshlrev_b16 v56, 5, v147
	v_lshlrev_b32_e32 v52, 5, v146
	v_mad_u16 v195, v144, 27, v147
	v_and_b32_e32 v57, 0xffff, v48
	v_and_b32_e32 v58, 0xffff, v56
	s_clause 0x1
	global_load_dwordx4 v[48:51], v52, s[2:3] offset:112
	global_load_dwordx4 v[52:55], v52, s[2:3] offset:96
	v_add_co_u32 v56, s0, s2, v57
	v_add_co_ci_u32_e64 v57, null, s3, 0, s0
	v_add_co_u32 v64, s0, s2, v58
	v_add_co_ci_u32_e64 v65, null, s3, 0, s0
	s_clause 0x3
	global_load_dwordx4 v[60:63], v[56:57], off offset:96
	global_load_dwordx4 v[56:59], v[56:57], off offset:112
	;; [unrolled: 1-line block ×4, first 2 shown]
	s_mov_b32 s0, 0xe8584caa
	s_mov_b32 s1, 0x3febb67a
	;; [unrolled: 1-line block ×3, first 2 shown]
	s_waitcnt vmcnt(0) lgkmcnt(0)
	s_barrier
	buffer_gl0_inv
	v_mul_f64 v[114:115], v[104:105], v[50:51]
	v_mul_f64 v[112:113], v[100:101], v[54:55]
	;; [unrolled: 1-line block ×12, first 2 shown]
	v_fma_f64 v[106:107], v[106:107], v[48:49], v[114:115]
	v_fma_f64 v[102:103], v[102:103], v[52:53], v[112:113]
	v_fma_f64 v[100:101], v[100:101], v[52:53], -v[108:109]
	v_fma_f64 v[104:105], v[104:105], v[48:49], -v[110:111]
	;; [unrolled: 1-line block ×4, first 2 shown]
	v_fma_f64 v[94:95], v[94:95], v[60:61], v[120:121]
	v_fma_f64 v[98:99], v[98:99], v[56:57], v[122:123]
	v_fma_f64 v[84:85], v[84:85], v[68:69], -v[124:125]
	v_fma_f64 v[88:89], v[88:89], v[64:65], -v[126:127]
	v_fma_f64 v[86:87], v[86:87], v[68:69], v[128:129]
	v_fma_f64 v[90:91], v[90:91], v[64:65], v[130:131]
	v_add_f64 v[110:111], v[102:103], v[106:107]
	v_add_f64 v[120:121], v[80:81], v[100:101]
	;; [unrolled: 1-line block ×3, first 2 shown]
	v_add_f64 v[122:123], v[102:103], -v[106:107]
	v_add_f64 v[102:103], v[82:83], v[102:103]
	v_add_f64 v[100:101], v[100:101], -v[104:105]
	v_add_f64 v[124:125], v[76:77], v[92:93]
	v_add_f64 v[112:113], v[92:93], v[96:97]
	;; [unrolled: 1-line block ×8, first 2 shown]
	v_add_f64 v[94:95], v[94:95], -v[98:99]
	v_add_f64 v[134:135], v[92:93], -v[96:97]
	v_add_f64 v[136:137], v[86:87], -v[90:91]
	v_add_f64 v[138:139], v[84:85], -v[88:89]
	v_fma_f64 v[110:111], v[110:111], -0.5, v[82:83]
	v_fma_f64 v[108:109], v[108:109], -0.5, v[80:81]
	;; [unrolled: 1-line block ×4, first 2 shown]
	v_add_f64 v[77:78], v[124:125], v[96:97]
	v_fma_f64 v[116:117], v[116:117], -0.5, v[72:73]
	v_add_f64 v[79:80], v[126:127], v[98:99]
	v_fma_f64 v[118:119], v[118:119], -0.5, v[74:75]
	v_add_f64 v[73:74], v[120:121], v[104:105]
	v_add_f64 v[75:76], v[102:103], v[106:107]
	;; [unrolled: 1-line block ×4, first 2 shown]
	v_mov_b32_e32 v72, 27
	v_fma_f64 v[83:84], v[100:101], s[4:5], v[110:111]
	v_fma_f64 v[87:88], v[100:101], s[0:1], v[110:111]
	;; [unrolled: 1-line block ×4, first 2 shown]
	v_mul_u32_u24_sdwa v93, v142, v72 dst_sel:DWORD dst_unused:UNUSED_PAD src0_sel:WORD_0 src1_sel:DWORD
	v_mov_b32_e32 v72, 4
	v_add_lshl_u32 v196, v93, v146, 4
	v_fma_f64 v[89:90], v[94:95], s[0:1], v[112:113]
	v_fma_f64 v[104:105], v[94:95], s[4:5], v[112:113]
	;; [unrolled: 1-line block ×8, first 2 shown]
	v_mad_u16 v94, v143, 27, v145
	v_lshlrev_b32_sdwa v197, v72, v94 dst_sel:DWORD dst_unused:UNUSED_PAD src0_sel:DWORD src1_sel:WORD_0
	ds_write_b128 v196, v[73:76]
	ds_write_b128 v196, v[81:84] offset:144
	ds_write_b128 v196, v[85:88] offset:288
	ds_write_b128 v197, v[77:80]
	ds_write_b128 v197, v[89:92] offset:144
	ds_write_b128 v197, v[104:107] offset:288
	s_and_saveexec_b32 s0, vcc_lo
	s_cbranch_execz .LBB0_15
; %bb.14:
	v_lshlrev_b32_sdwa v72, v72, v195 dst_sel:DWORD dst_unused:UNUSED_PAD src0_sel:DWORD src1_sel:WORD_0
	ds_write_b128 v72, v[96:99]
	ds_write_b128 v72, v[100:103] offset:144
	ds_write_b128 v72, v[112:115] offset:288
.LBB0_15:
	s_or_b32 exec_lo, exec_lo, s0
	s_waitcnt lgkmcnt(0)
	s_barrier
	buffer_gl0_inv
	ds_read_b128 v[108:111], v185
	ds_read_b128 v[104:107], v185 offset:3888
	ds_read_b128 v[124:127], v185 offset:10368
	;; [unrolled: 1-line block ×5, first 2 shown]
	s_and_saveexec_b32 s0, vcc_lo
	s_cbranch_execz .LBB0_17
; %bb.16:
	ds_read_b128 v[96:99], v185 offset:7776
	ds_read_b128 v[100:103], v185 offset:18144
	;; [unrolled: 1-line block ×3, first 2 shown]
.LBB0_17:
	s_or_b32 exec_lo, exec_lo, s0
	v_mov_b32_e32 v72, 0x2f69
	v_mul_lo_u16 v76, v133, 19
	v_mul_u32_u24_sdwa v73, v132, v72 dst_sel:DWORD dst_unused:UNUSED_PAD src0_sel:WORD_0 src1_sel:DWORD
	v_mul_u32_u24_sdwa v72, v140, v72 dst_sel:DWORD dst_unused:UNUSED_PAD src0_sel:WORD_0 src1_sel:DWORD
	v_lshrrev_b16 v164, 9, v76
	v_lshrrev_b32_e32 v73, 16, v73
	v_lshrrev_b32_e32 v72, 16, v72
	v_sub_nc_u16 v74, v132, v73
	v_sub_nc_u16 v75, v140, v72
	v_lshrrev_b16 v74, 1, v74
	v_lshrrev_b16 v75, 1, v75
	v_add_nc_u16 v73, v74, v73
	v_add_nc_u16 v72, v75, v72
	v_lshrrev_b16 v165, 4, v73
	v_lshrrev_b16 v166, 4, v72
	v_mul_lo_u16 v73, v164, 27
	v_mul_lo_u16 v72, v165, 27
	;; [unrolled: 1-line block ×3, first 2 shown]
	v_sub_nc_u16 v73, v188, v73
	v_sub_nc_u16 v167, v132, v72
	;; [unrolled: 1-line block ×3, first 2 shown]
	v_and_b32_e32 v168, 0xff, v73
	v_lshlrev_b16 v72, 5, v167
	v_lshlrev_b16 v80, 5, v169
	v_lshlrev_b32_e32 v76, 5, v168
	v_mad_u16 v198, 0x51, v166, v169
	v_and_b32_e32 v81, 0xffff, v72
	v_and_b32_e32 v82, 0xffff, v80
	s_clause 0x1
	global_load_dwordx4 v[72:75], v76, s[2:3] offset:400
	global_load_dwordx4 v[76:79], v76, s[2:3] offset:384
	v_add_co_u32 v80, s0, s2, v81
	v_add_co_ci_u32_e64 v81, null, s3, 0, s0
	v_add_co_u32 v88, s0, s2, v82
	v_add_co_ci_u32_e64 v89, null, s3, 0, s0
	s_clause 0x3
	global_load_dwordx4 v[84:87], v[80:81], off offset:384
	global_load_dwordx4 v[80:83], v[80:81], off offset:400
	;; [unrolled: 1-line block ×4, first 2 shown]
	s_mov_b32 s0, 0xe8584caa
	s_mov_b32 s1, 0x3febb67a
	;; [unrolled: 1-line block ×3, first 2 shown]
	s_waitcnt vmcnt(0) lgkmcnt(0)
	s_barrier
	buffer_gl0_inv
	v_mul_f64 v[138:139], v[130:131], v[74:75]
	v_mul_f64 v[134:135], v[126:127], v[78:79]
	;; [unrolled: 1-line block ×12, first 2 shown]
	v_fma_f64 v[128:129], v[128:129], v[72:73], -v[138:139]
	v_fma_f64 v[124:125], v[124:125], v[76:77], -v[134:135]
	v_fma_f64 v[126:127], v[126:127], v[76:77], v[136:137]
	v_fma_f64 v[130:131], v[130:131], v[72:73], v[142:143]
	v_fma_f64 v[134:135], v[116:117], v[84:85], -v[144:145]
	v_fma_f64 v[136:137], v[118:119], v[84:85], v[146:147]
	v_fma_f64 v[138:139], v[120:121], v[80:81], -v[148:149]
	;; [unrolled: 2-line block ×4, first 2 shown]
	v_fma_f64 v[102:103], v[114:115], v[88:89], v[158:159]
	v_add_f64 v[112:113], v[124:125], v[128:129]
	v_add_f64 v[148:149], v[108:109], v[124:125]
	;; [unrolled: 1-line block ×3, first 2 shown]
	v_add_f64 v[150:151], v[126:127], -v[130:131]
	v_add_f64 v[126:127], v[110:111], v[126:127]
	v_add_f64 v[152:153], v[124:125], -v[128:129]
	v_add_f64 v[154:155], v[104:105], v[134:135]
	v_add_f64 v[120:121], v[134:135], v[138:139]
	;; [unrolled: 1-line block ×3, first 2 shown]
	v_add_f64 v[156:157], v[136:137], -v[142:143]
	v_add_f64 v[136:137], v[106:107], v[136:137]
	v_add_f64 v[144:145], v[116:117], v[100:101]
	;; [unrolled: 1-line block ×3, first 2 shown]
	v_add_f64 v[158:159], v[134:135], -v[138:139]
	v_fma_f64 v[112:113], v[112:113], -0.5, v[108:109]
	v_add_f64 v[108:109], v[118:119], -v[102:103]
	v_fma_f64 v[114:115], v[114:115], -0.5, v[110:111]
	v_add_f64 v[110:111], v[116:117], -v[100:101]
	v_add_f64 v[134:135], v[154:155], v[138:139]
	v_fma_f64 v[160:161], v[120:121], -0.5, v[104:105]
	v_fma_f64 v[162:163], v[122:123], -0.5, v[106:107]
	v_add_f64 v[120:121], v[148:149], v[128:129]
	v_add_f64 v[122:123], v[126:127], v[130:131]
	v_fma_f64 v[104:105], v[144:145], -0.5, v[96:97]
	v_fma_f64 v[106:107], v[146:147], -0.5, v[98:99]
	v_add_f64 v[136:137], v[136:137], v[142:143]
	v_fma_f64 v[124:125], v[150:151], s[0:1], v[112:113]
	v_fma_f64 v[128:129], v[150:151], s[4:5], v[112:113]
	;; [unrolled: 1-line block ×4, first 2 shown]
	v_mov_b32_e32 v112, 0x51
	v_mad_u16 v114, 0x51, v165, v167
	v_mul_u32_u24_sdwa v113, v164, v112 dst_sel:DWORD dst_unused:UNUSED_PAD src0_sel:WORD_0 src1_sel:DWORD
	v_mov_b32_e32 v112, 4
	v_fma_f64 v[142:143], v[156:157], s[0:1], v[160:161]
	v_fma_f64 v[144:145], v[158:159], s[4:5], v[162:163]
	;; [unrolled: 1-line block ×6, first 2 shown]
	v_add_lshl_u32 v199, v113, v168, 4
	v_lshlrev_b32_sdwa v200, v112, v114 dst_sel:DWORD dst_unused:UNUSED_PAD src0_sel:DWORD src1_sel:WORD_0
	ds_write_b128 v199, v[120:123]
	ds_write_b128 v199, v[124:127] offset:432
	ds_write_b128 v199, v[128:131] offset:864
	ds_write_b128 v200, v[134:137]
	ds_write_b128 v200, v[142:145] offset:432
	ds_write_b128 v200, v[152:155] offset:864
	s_and_saveexec_b32 s4, vcc_lo
	s_cbranch_execz .LBB0_19
; %bb.18:
	v_add_f64 v[113:114], v[98:99], v[118:119]
	v_add_f64 v[96:97], v[96:97], v[116:117]
	v_mul_f64 v[110:111], v[110:111], s[0:1]
	v_mul_f64 v[108:109], v[108:109], s[0:1]
	v_add_f64 v[102:103], v[113:114], v[102:103]
	v_add_f64 v[100:101], v[96:97], v[100:101]
	v_add_f64 v[98:99], v[106:107], -v[110:111]
	v_add_f64 v[96:97], v[108:109], v[104:105]
	v_lshlrev_b32_sdwa v104, v112, v198 dst_sel:DWORD dst_unused:UNUSED_PAD src0_sel:DWORD src1_sel:WORD_0
	ds_write_b128 v104, v[100:103]
	ds_write_b128 v104, v[96:99] offset:432
	ds_write_b128 v104, v[148:151] offset:864
.LBB0_19:
	s_or_b32 exec_lo, exec_lo, s4
	v_mul_lo_u16 v96, 0xcb, v133
	s_waitcnt lgkmcnt(0)
	s_barrier
	buffer_gl0_inv
	s_mov_b32 s0, 0x667f3bcd
	v_lshrrev_b16 v139, 14, v96
	s_mov_b32 s1, 0xbfe6a09e
	s_mov_b32 s5, 0x3fe6a09e
	;; [unrolled: 1-line block ×3, first 2 shown]
	v_mul_lo_u16 v96, 0x51, v139
	v_sub_nc_u16 v96, v188, v96
	v_and_b32_e32 v209, 0xff, v96
	v_mad_u64_u32 v[112:113], null, 0x70, v209, s[2:3]
	s_clause 0x6
	global_load_dwordx4 v[104:107], v[112:113], off offset:1248
	global_load_dwordx4 v[100:103], v[112:113], off offset:1264
	;; [unrolled: 1-line block ×7, first 2 shown]
	ds_read_b128 v[124:127], v185 offset:3888
	ds_read_b128 v[128:131], v185 offset:7776
	;; [unrolled: 1-line block ×7, first 2 shown]
	ds_read_b128 v[164:167], v185
	s_waitcnt vmcnt(0) lgkmcnt(0)
	s_barrier
	buffer_gl0_inv
	v_mul_f64 v[137:138], v[126:127], v[106:107]
	v_mul_f64 v[146:147], v[124:125], v[106:107]
	;; [unrolled: 1-line block ×14, first 2 shown]
	v_fma_f64 v[124:125], v[124:125], v[104:105], -v[137:138]
	v_fma_f64 v[126:127], v[126:127], v[104:105], v[146:147]
	v_fma_f64 v[128:129], v[128:129], v[100:101], -v[168:169]
	v_fma_f64 v[130:131], v[130:131], v[100:101], v[170:171]
	;; [unrolled: 2-line block ×7, first 2 shown]
	v_add_f64 v[133:134], v[164:165], -v[133:134]
	v_add_f64 v[135:136], v[166:167], -v[135:136]
	;; [unrolled: 1-line block ×8, first 2 shown]
	v_fma_f64 v[160:161], v[164:165], 2.0, -v[133:134]
	v_fma_f64 v[162:163], v[166:167], 2.0, -v[135:136]
	;; [unrolled: 1-line block ×6, first 2 shown]
	v_add_f64 v[142:143], v[133:134], -v[142:143]
	v_add_f64 v[137:138], v[135:136], v[137:138]
	v_fma_f64 v[152:153], v[152:153], 2.0, -v[156:157]
	v_fma_f64 v[154:155], v[154:155], 2.0, -v[158:159]
	v_add_f64 v[158:159], v[144:145], -v[158:159]
	v_add_f64 v[156:157], v[146:147], v[156:157]
	v_add_f64 v[168:169], v[160:161], -v[128:129]
	v_add_f64 v[170:171], v[162:163], -v[130:131]
	v_fma_f64 v[172:173], v[133:134], 2.0, -v[142:143]
	v_fma_f64 v[174:175], v[135:136], 2.0, -v[137:138]
	v_add_f64 v[128:129], v[124:125], -v[152:153]
	v_add_f64 v[130:131], v[126:127], -v[154:155]
	v_fma_f64 v[133:134], v[144:145], 2.0, -v[158:159]
	v_fma_f64 v[135:136], v[146:147], 2.0, -v[156:157]
	v_fma_f64 v[144:145], v[158:159], s[4:5], v[142:143]
	v_fma_f64 v[146:147], v[156:157], s[4:5], v[137:138]
	v_fma_f64 v[160:161], v[160:161], 2.0, -v[168:169]
	v_fma_f64 v[162:163], v[162:163], 2.0, -v[170:171]
	v_fma_f64 v[124:125], v[124:125], 2.0, -v[128:129]
	v_fma_f64 v[126:127], v[126:127], 2.0, -v[130:131]
	v_fma_f64 v[176:177], v[133:134], s[0:1], v[172:173]
	v_fma_f64 v[178:179], v[135:136], s[0:1], v[174:175]
	v_add_f64 v[152:153], v[168:169], -v[130:131]
	v_add_f64 v[154:155], v[170:171], v[128:129]
	v_fma_f64 v[164:165], v[156:157], s[0:1], v[144:145]
	v_fma_f64 v[166:167], v[158:159], s[4:5], v[146:147]
	v_mov_b32_e32 v146, 0x288
	v_add_f64 v[124:125], v[160:161], -v[124:125]
	v_add_f64 v[126:127], v[162:163], -v[126:127]
	v_fma_f64 v[128:129], v[135:136], s[0:1], v[176:177]
	v_fma_f64 v[130:131], v[133:134], s[4:5], v[178:179]
	v_fma_f64 v[133:134], v[168:169], 2.0, -v[152:153]
	v_fma_f64 v[135:136], v[170:171], 2.0, -v[154:155]
	;; [unrolled: 1-line block ×4, first 2 shown]
	v_mul_u32_u24_sdwa v137, v139, v146 dst_sel:DWORD dst_unused:UNUSED_PAD src0_sel:WORD_0 src1_sel:DWORD
	v_add_lshl_u32 v201, v137, v209, 4
	v_fma_f64 v[156:157], v[160:161], 2.0, -v[124:125]
	v_fma_f64 v[158:159], v[162:163], 2.0, -v[126:127]
	;; [unrolled: 1-line block ×4, first 2 shown]
	ds_write_b128 v201, v[152:155] offset:7776
	ds_write_b128 v201, v[164:167] offset:9072
	;; [unrolled: 1-line block ×6, first 2 shown]
	ds_write_b128 v201, v[156:159]
	ds_write_b128 v201, v[160:163] offset:1296
	s_waitcnt lgkmcnt(0)
	s_barrier
	buffer_gl0_inv
	ds_read_b128 v[160:163], v185
	ds_read_b128 v[156:159], v185 offset:3888
	ds_read_b128 v[176:179], v185 offset:10368
	;; [unrolled: 1-line block ×5, first 2 shown]
	s_and_saveexec_b32 s0, vcc_lo
	s_cbranch_execz .LBB0_21
; %bb.20:
	ds_read_b128 v[152:155], v185 offset:7776
	ds_read_b128 v[164:167], v185 offset:18144
	;; [unrolled: 1-line block ×3, first 2 shown]
.LBB0_21:
	s_or_b32 exec_lo, exec_lo, s0
	v_lshlrev_b32_e32 v124, 5, v188
	v_lshlrev_b32_e32 v130, 5, v132
	v_add_co_u32 v126, s0, s2, v124
	v_add_co_ci_u32_e64 v127, null, s3, 0, s0
	v_add_co_u32 v124, s0, 0x2850, v126
	v_add_co_ci_u32_e64 v125, s0, 0, v127, s0
	v_add_co_u32 v126, s0, 0x2800, v126
	v_add_co_ci_u32_e64 v127, s0, 0, v127, s0
	v_add_co_u32 v128, s0, 0xffffff5e, v188
	v_add_co_ci_u32_e64 v129, null, 0, -1, s0
	s_clause 0x1
	global_load_dwordx4 v[132:135], v[126:127], off offset:80
	global_load_dwordx4 v[136:139], v[124:125], off offset:16
	v_cndmask_b32_e32 v124, v128, v140, vcc_lo
	v_add_co_u32 v128, s0, s2, v130
	v_cndmask_b32_e32 v125, v129, v141, vcc_lo
	v_add_co_ci_u32_e64 v129, null, s3, 0, s0
	v_add_co_u32 v126, s0, 0x2850, v128
	v_lshlrev_b64 v[124:125], 5, v[124:125]
	v_add_co_ci_u32_e64 v127, s0, 0, v129, s0
	v_add_co_u32 v130, s0, s2, v124
	v_add_co_ci_u32_e64 v131, s0, s3, v125, s0
	v_add_co_u32 v124, s0, 0x2800, v128
	;; [unrolled: 2-line block ×4, first 2 shown]
	v_add_co_ci_u32_e64 v131, s0, 0, v131, s0
	s_clause 0x3
	global_load_dwordx4 v[140:143], v[124:125], off offset:80
	global_load_dwordx4 v[144:147], v[126:127], off offset:16
	;; [unrolled: 1-line block ×4, first 2 shown]
	s_mov_b32 s0, 0xe8584caa
	s_mov_b32 s1, 0x3febb67a
	;; [unrolled: 1-line block ×4, first 2 shown]
	s_waitcnt vmcnt(5) lgkmcnt(3)
	v_mul_f64 v[206:207], v[176:177], v[134:135]
	s_waitcnt vmcnt(4) lgkmcnt(1)
	v_mul_f64 v[208:209], v[180:181], v[138:139]
	v_mul_f64 v[202:203], v[178:179], v[134:135]
	;; [unrolled: 1-line block ×3, first 2 shown]
	v_fma_f64 v[178:179], v[178:179], v[132:133], v[206:207]
	v_fma_f64 v[182:183], v[182:183], v[136:137], v[208:209]
	v_fma_f64 v[176:177], v[176:177], v[132:133], -v[202:203]
	v_fma_f64 v[180:181], v[180:181], v[136:137], -v[204:205]
	s_waitcnt vmcnt(3)
	v_mul_f64 v[210:211], v[170:171], v[142:143]
	s_waitcnt vmcnt(2) lgkmcnt(0)
	v_mul_f64 v[212:213], v[174:175], v[146:147]
	v_mul_f64 v[214:215], v[168:169], v[142:143]
	;; [unrolled: 1-line block ×3, first 2 shown]
	s_waitcnt vmcnt(1)
	v_mul_f64 v[218:219], v[166:167], v[126:127]
	s_waitcnt vmcnt(0)
	v_mul_f64 v[220:221], v[150:151], v[130:131]
	v_mul_f64 v[222:223], v[164:165], v[126:127]
	;; [unrolled: 1-line block ×3, first 2 shown]
	v_add_f64 v[204:205], v[178:179], v[182:183]
	v_add_f64 v[202:203], v[176:177], v[180:181]
	v_fma_f64 v[168:169], v[168:169], v[140:141], -v[210:211]
	v_fma_f64 v[172:173], v[172:173], v[144:145], -v[212:213]
	v_fma_f64 v[170:171], v[170:171], v[140:141], v[214:215]
	v_fma_f64 v[174:175], v[174:175], v[144:145], v[216:217]
	v_fma_f64 v[164:165], v[164:165], v[124:125], -v[218:219]
	v_fma_f64 v[148:149], v[148:149], v[128:129], -v[220:221]
	v_fma_f64 v[166:167], v[166:167], v[124:125], v[222:223]
	v_fma_f64 v[150:151], v[150:151], v[128:129], v[224:225]
	v_add_f64 v[214:215], v[160:161], v[176:177]
	v_add_f64 v[216:217], v[178:179], -v[182:183]
	v_add_f64 v[178:179], v[162:163], v[178:179]
	v_add_f64 v[176:177], v[176:177], -v[180:181]
	v_fma_f64 v[204:205], v[204:205], -0.5, v[162:163]
	v_fma_f64 v[202:203], v[202:203], -0.5, v[160:161]
	v_add_f64 v[218:219], v[156:157], v[168:169]
	v_add_f64 v[206:207], v[168:169], v[172:173]
	v_add_f64 v[220:221], v[158:159], v[170:171]
	v_add_f64 v[208:209], v[170:171], v[174:175]
	v_add_f64 v[222:223], v[152:153], v[164:165]
	v_add_f64 v[210:211], v[164:165], v[148:149]
	v_add_f64 v[224:225], v[154:155], v[166:167]
	v_add_f64 v[212:213], v[166:167], v[150:151]
	v_add_f64 v[226:227], v[170:171], -v[174:175]
	v_add_f64 v[228:229], v[164:165], -v[148:149]
	v_add_f64 v[160:161], v[214:215], v[180:181]
	v_add_f64 v[162:163], v[178:179], v[182:183]
	v_fma_f64 v[170:171], v[176:177], s[2:3], v[204:205]
	v_add_f64 v[164:165], v[218:219], v[172:173]
	v_fma_f64 v[156:157], v[206:207], -0.5, v[156:157]
	v_add_f64 v[206:207], v[168:169], -v[172:173]
	v_fma_f64 v[158:159], v[208:209], -0.5, v[158:159]
	v_add_f64 v[208:209], v[166:167], -v[150:151]
	v_fma_f64 v[210:211], v[210:211], -0.5, v[152:153]
	v_add_f64 v[166:167], v[220:221], v[174:175]
	v_fma_f64 v[212:213], v[212:213], -0.5, v[154:155]
	v_add_f64 v[148:149], v[222:223], v[148:149]
	v_add_f64 v[150:151], v[224:225], v[150:151]
	v_fma_f64 v[174:175], v[176:177], s[0:1], v[204:205]
	v_fma_f64 v[168:169], v[216:217], s[0:1], v[202:203]
	;; [unrolled: 1-line block ×11, first 2 shown]
	ds_write_b128 v185, v[160:163]
	ds_write_b128 v185, v[168:171] offset:10368
	ds_write_b128 v185, v[172:175] offset:20736
	;; [unrolled: 1-line block ×5, first 2 shown]
	s_and_saveexec_b32 s0, vcc_lo
	s_cbranch_execz .LBB0_23
; %bb.22:
	ds_write_b128 v185, v[148:151] offset:7776
	ds_write_b128 v185, v[152:155] offset:18144
	;; [unrolled: 1-line block ×3, first 2 shown]
.LBB0_23:
	s_or_b32 exec_lo, exec_lo, s0
	v_add_co_u32 v160, s0, 0x7800, v186
	v_add_co_ci_u32_e64 v161, s0, 0, v187, s0
	v_add_co_u32 v164, s0, 0xa000, v186
	v_add_co_ci_u32_e64 v165, s0, 0, v187, s0
	;; [unrolled: 2-line block ×5, first 2 shown]
	v_add_co_u32 v180, s0, 0xd800, v186
	s_waitcnt lgkmcnt(0)
	s_barrier
	buffer_gl0_inv
	s_clause 0x2
	global_load_dwordx4 v[160:163], v[160:161], off offset:384
	global_load_dwordx4 v[164:167], v[164:165], off offset:512
	;; [unrolled: 1-line block ×3, first 2 shown]
	v_add_co_ci_u32_e64 v181, s0, 0, v187, s0
	s_clause 0x2
	global_load_dwordx4 v[172:175], v[172:173], off offset:176
	global_load_dwordx4 v[176:179], v[176:177], off offset:304
	;; [unrolled: 1-line block ×3, first 2 shown]
	ds_read_b128 v[202:205], v185
	ds_read_b128 v[206:209], v185 offset:10368
	ds_read_b128 v[210:213], v185 offset:20736
	;; [unrolled: 1-line block ×5, first 2 shown]
	s_waitcnt vmcnt(5) lgkmcnt(5)
	v_mul_f64 v[226:227], v[204:205], v[162:163]
	v_mul_f64 v[162:163], v[202:203], v[162:163]
	s_waitcnt vmcnt(4) lgkmcnt(4)
	v_mul_f64 v[228:229], v[208:209], v[166:167]
	v_mul_f64 v[166:167], v[206:207], v[166:167]
	;; [unrolled: 3-line block ×6, first 2 shown]
	v_fma_f64 v[202:203], v[202:203], v[160:161], -v[226:227]
	v_fma_f64 v[204:205], v[204:205], v[160:161], v[162:163]
	v_fma_f64 v[160:161], v[206:207], v[164:165], -v[228:229]
	v_fma_f64 v[162:163], v[208:209], v[164:165], v[166:167]
	;; [unrolled: 2-line block ×6, first 2 shown]
	ds_write_b128 v185, v[202:205]
	ds_write_b128 v185, v[160:163] offset:10368
	ds_write_b128 v185, v[164:167] offset:20736
	;; [unrolled: 1-line block ×5, first 2 shown]
	s_and_saveexec_b32 s1, vcc_lo
	s_cbranch_execz .LBB0_25
; %bb.24:
	v_add_co_u32 v162, s0, 0x7980, v186
	v_add_co_ci_u32_e64 v163, s0, 0, v187, s0
	v_add_co_u32 v160, s0, 0x1800, v162
	v_add_co_ci_u32_e64 v161, s0, 0, v163, s0
	;; [unrolled: 2-line block ×4, first 2 shown]
	s_clause 0x2
	global_load_dwordx4 v[160:163], v[160:161], off offset:1632
	global_load_dwordx4 v[164:167], v[164:165], off offset:1760
	;; [unrolled: 1-line block ×3, first 2 shown]
	ds_read_b128 v[172:175], v185 offset:7776
	ds_read_b128 v[176:179], v185 offset:18144
	;; [unrolled: 1-line block ×3, first 2 shown]
	s_waitcnt vmcnt(2) lgkmcnt(2)
	v_mul_f64 v[202:203], v[174:175], v[162:163]
	v_mul_f64 v[162:163], v[172:173], v[162:163]
	s_waitcnt vmcnt(1) lgkmcnt(1)
	v_mul_f64 v[204:205], v[178:179], v[166:167]
	v_mul_f64 v[166:167], v[176:177], v[166:167]
	;; [unrolled: 3-line block ×3, first 2 shown]
	v_fma_f64 v[170:171], v[172:173], v[160:161], -v[202:203]
	v_fma_f64 v[172:173], v[174:175], v[160:161], v[162:163]
	v_fma_f64 v[160:161], v[176:177], v[164:165], -v[204:205]
	v_fma_f64 v[162:163], v[178:179], v[164:165], v[166:167]
	;; [unrolled: 2-line block ×3, first 2 shown]
	ds_write_b128 v185, v[170:173] offset:7776
	ds_write_b128 v185, v[160:163] offset:18144
	;; [unrolled: 1-line block ×3, first 2 shown]
.LBB0_25:
	s_or_b32 exec_lo, exec_lo, s1
	s_waitcnt lgkmcnt(0)
	s_barrier
	buffer_gl0_inv
	ds_read_b128 v[172:175], v185
	ds_read_b128 v[168:171], v185 offset:3888
	ds_read_b128 v[180:183], v185 offset:10368
	;; [unrolled: 1-line block ×5, first 2 shown]
	s_and_saveexec_b32 s0, vcc_lo
	s_cbranch_execz .LBB0_27
; %bb.26:
	ds_read_b128 v[148:151], v185 offset:7776
	ds_read_b128 v[152:155], v185 offset:18144
	;; [unrolled: 1-line block ×3, first 2 shown]
.LBB0_27:
	s_or_b32 exec_lo, exec_lo, s0
	s_waitcnt lgkmcnt(1)
	v_add_f64 v[202:203], v[180:181], v[164:165]
	s_waitcnt lgkmcnt(0)
	v_add_f64 v[206:207], v[176:177], v[160:161]
	v_add_f64 v[208:209], v[178:179], v[162:163]
	;; [unrolled: 1-line block ×6, first 2 shown]
	v_add_f64 v[216:217], v[182:183], -v[166:167]
	v_add_f64 v[182:183], v[174:175], v[182:183]
	v_add_f64 v[218:219], v[168:169], v[176:177]
	;; [unrolled: 1-line block ×5, first 2 shown]
	v_add_f64 v[226:227], v[152:153], -v[156:157]
	v_add_f64 v[180:181], v[180:181], -v[164:165]
	;; [unrolled: 1-line block ×3, first 2 shown]
	s_mov_b32 s0, 0xe8584caa
	s_mov_b32 s1, 0xbfebb67a
	;; [unrolled: 1-line block ×4, first 2 shown]
	s_barrier
	v_fma_f64 v[172:173], v[202:203], -0.5, v[172:173]
	v_fma_f64 v[202:203], v[206:207], -0.5, v[168:169]
	;; [unrolled: 1-line block ×3, first 2 shown]
	v_add_f64 v[208:209], v[154:155], -v[158:159]
	v_fma_f64 v[210:211], v[210:211], -0.5, v[148:149]
	v_fma_f64 v[212:213], v[212:213], -0.5, v[150:151]
	;; [unrolled: 1-line block ×3, first 2 shown]
	v_add_f64 v[204:205], v[176:177], -v[160:161]
	v_add_f64 v[152:153], v[214:215], v[164:165]
	v_add_f64 v[154:155], v[182:183], v[166:167]
	;; [unrolled: 1-line block ×6, first 2 shown]
	buffer_gl0_inv
	v_fma_f64 v[156:157], v[216:217], s[0:1], v[172:173]
	v_fma_f64 v[172:173], v[216:217], s[2:3], v[172:173]
	v_fma_f64 v[176:177], v[178:179], s[0:1], v[202:203]
	v_fma_f64 v[160:161], v[208:209], s[0:1], v[210:211]
	v_fma_f64 v[164:165], v[208:209], s[2:3], v[210:211]
	v_fma_f64 v[162:163], v[226:227], s[2:3], v[212:213]
	v_fma_f64 v[166:167], v[226:227], s[0:1], v[212:213]
	v_fma_f64 v[158:159], v[180:181], s[2:3], v[174:175]
	v_fma_f64 v[174:175], v[180:181], s[0:1], v[174:175]
	v_fma_f64 v[180:181], v[178:179], s[2:3], v[202:203]
	v_fma_f64 v[178:179], v[204:205], s[2:3], v[206:207]
	v_fma_f64 v[182:183], v[204:205], s[0:1], v[206:207]
	ds_write_b128 v191, v[152:155]
	ds_write_b128 v191, v[156:159] offset:16
	ds_write_b128 v191, v[172:175] offset:32
	ds_write_b128 v189, v[168:171]
	ds_write_b128 v189, v[176:179] offset:16
	ds_write_b128 v189, v[180:183] offset:32
	s_and_saveexec_b32 s0, vcc_lo
	s_cbranch_execz .LBB0_29
; %bb.28:
	v_lshlrev_b32_e32 v152, 4, v190
	ds_write_b128 v152, v[148:151]
	ds_write_b128 v152, v[160:163] offset:16
	ds_write_b128 v152, v[164:167] offset:32
.LBB0_29:
	s_or_b32 exec_lo, exec_lo, s0
	s_waitcnt lgkmcnt(0)
	s_barrier
	buffer_gl0_inv
	ds_read_b128 v[156:159], v185
	ds_read_b128 v[152:155], v185 offset:3888
	ds_read_b128 v[176:179], v185 offset:10368
	;; [unrolled: 1-line block ×5, first 2 shown]
	s_and_saveexec_b32 s0, vcc_lo
	s_cbranch_execz .LBB0_31
; %bb.30:
	ds_read_b128 v[148:151], v185 offset:7776
	ds_read_b128 v[160:163], v185 offset:18144
	;; [unrolled: 1-line block ×3, first 2 shown]
.LBB0_31:
	s_or_b32 exec_lo, exec_lo, s0
	s_waitcnt lgkmcnt(3)
	v_mul_f64 v[189:190], v[38:39], v[178:179]
	s_waitcnt lgkmcnt(1)
	v_mul_f64 v[202:203], v[34:35], v[182:183]
	v_mul_f64 v[38:39], v[38:39], v[176:177]
	v_mul_f64 v[34:35], v[34:35], v[180:181]
	v_mul_f64 v[204:205], v[30:31], v[170:171]
	s_waitcnt lgkmcnt(0)
	v_mul_f64 v[206:207], v[26:27], v[174:175]
	v_mul_f64 v[30:31], v[30:31], v[168:169]
	;; [unrolled: 1-line block ×7, first 2 shown]
	s_mov_b32 s0, 0xe8584caa
	s_mov_b32 s1, 0xbfebb67a
	;; [unrolled: 1-line block ×3, first 2 shown]
	s_barrier
	buffer_gl0_inv
	v_fma_f64 v[176:177], v[36:37], v[176:177], v[189:190]
	v_fma_f64 v[180:181], v[32:33], v[180:181], v[202:203]
	v_fma_f64 v[36:37], v[36:37], v[178:179], -v[38:39]
	v_fma_f64 v[32:33], v[32:33], v[182:183], -v[34:35]
	v_fma_f64 v[34:35], v[28:29], v[168:169], v[204:205]
	v_fma_f64 v[38:39], v[24:25], v[172:173], v[206:207]
	v_fma_f64 v[28:29], v[28:29], v[170:171], -v[30:31]
	v_fma_f64 v[24:25], v[24:25], v[174:175], -v[26:27]
	;; [unrolled: 4-line block ×3, first 2 shown]
	v_add_f64 v[168:169], v[156:157], v[176:177]
	v_add_f64 v[42:43], v[176:177], v[180:181]
	;; [unrolled: 1-line block ×3, first 2 shown]
	v_add_f64 v[170:171], v[36:37], -v[32:33]
	v_add_f64 v[46:47], v[34:35], v[38:39]
	v_add_f64 v[36:37], v[158:159], v[36:37]
	;; [unrolled: 1-line block ×9, first 2 shown]
	v_add_f64 v[204:205], v[30:31], -v[40:41]
	v_add_f64 v[206:207], v[26:27], -v[160:161]
	;; [unrolled: 1-line block ×3, first 2 shown]
	v_fma_f64 v[42:43], v[42:43], -0.5, v[156:157]
	v_add_f64 v[156:157], v[176:177], -v[180:181]
	v_fma_f64 v[158:159], v[44:45], -0.5, v[158:159]
	v_add_f64 v[176:177], v[28:29], -v[24:25]
	v_fma_f64 v[189:190], v[46:47], -0.5, v[152:153]
	v_add_f64 v[28:29], v[168:169], v[180:181]
	v_fma_f64 v[162:163], v[162:163], -0.5, v[154:155]
	v_add_f64 v[30:31], v[36:37], v[32:33]
	;; [unrolled: 2-line block ×4, first 2 shown]
	v_add_f64 v[24:25], v[178:179], v[160:161]
	v_add_f64 v[26:27], v[40:41], v[182:183]
	v_fma_f64 v[44:45], v[170:171], s[0:1], v[42:43]
	v_fma_f64 v[148:149], v[170:171], s[2:3], v[42:43]
	;; [unrolled: 1-line block ×12, first 2 shown]
	ds_write_b128 v194, v[28:31]
	ds_write_b128 v194, v[44:47] offset:48
	ds_write_b128 v194, v[148:151] offset:96
	ds_write_b128 v193, v[32:35]
	ds_write_b128 v193, v[152:155] offset:48
	ds_write_b128 v193, v[156:159] offset:96
	s_and_saveexec_b32 s0, vcc_lo
	s_cbranch_execz .LBB0_33
; %bb.32:
	v_mov_b32_e32 v28, 4
	v_lshlrev_b32_sdwa v28, v28, v192 dst_sel:DWORD dst_unused:UNUSED_PAD src0_sel:DWORD src1_sel:WORD_0
	ds_write_b128 v28, v[24:27]
	ds_write_b128 v28, v[36:39] offset:48
	ds_write_b128 v28, v[40:43] offset:96
.LBB0_33:
	s_or_b32 exec_lo, exec_lo, s0
	s_waitcnt lgkmcnt(0)
	s_barrier
	buffer_gl0_inv
	ds_read_b128 v[32:35], v185
	ds_read_b128 v[28:31], v185 offset:3888
	ds_read_b128 v[152:155], v185 offset:10368
	;; [unrolled: 1-line block ×5, first 2 shown]
	s_and_saveexec_b32 s0, vcc_lo
	s_cbranch_execz .LBB0_35
; %bb.34:
	ds_read_b128 v[24:27], v185 offset:7776
	ds_read_b128 v[36:39], v185 offset:18144
	;; [unrolled: 1-line block ×3, first 2 shown]
.LBB0_35:
	s_or_b32 exec_lo, exec_lo, s0
	s_waitcnt lgkmcnt(1)
	v_mul_f64 v[168:169], v[70:71], v[38:39]
	s_waitcnt lgkmcnt(0)
	v_mul_f64 v[170:171], v[66:67], v[42:43]
	v_mul_f64 v[70:71], v[70:71], v[36:37]
	;; [unrolled: 1-line block ×11, first 2 shown]
	s_mov_b32 s0, 0xe8584caa
	s_mov_b32 s1, 0xbfebb67a
	s_mov_b32 s2, s0
	s_barrier
	buffer_gl0_inv
	v_fma_f64 v[36:37], v[68:69], v[36:37], v[168:169]
	v_fma_f64 v[40:41], v[64:65], v[40:41], v[170:171]
	v_fma_f64 v[38:39], v[68:69], v[38:39], -v[70:71]
	v_fma_f64 v[42:43], v[64:65], v[42:43], -v[66:67]
	v_fma_f64 v[152:153], v[52:53], v[152:153], v[160:161]
	v_fma_f64 v[156:157], v[48:49], v[156:157], v[162:163]
	v_fma_f64 v[52:53], v[52:53], v[154:155], -v[54:55]
	v_fma_f64 v[48:49], v[48:49], v[158:159], -v[50:51]
	;; [unrolled: 4-line block ×3, first 2 shown]
	v_add_f64 v[154:155], v[36:37], v[24:25]
	v_add_f64 v[64:65], v[36:37], v[40:41]
	;; [unrolled: 1-line block ×6, first 2 shown]
	v_add_f64 v[38:39], v[38:39], -v[42:43]
	v_add_f64 v[58:59], v[52:53], v[48:49]
	v_add_f64 v[70:71], v[52:53], -v[48:49]
	v_add_f64 v[60:61], v[44:45], v[50:51]
	v_add_f64 v[52:53], v[34:35], v[52:53]
	v_add_f64 v[62:63], v[46:47], v[54:55]
	v_add_f64 v[164:165], v[36:37], -v[40:41]
	v_add_f64 v[152:153], v[152:153], -v[156:157]
	v_add_f64 v[148:149], v[28:29], v[44:45]
	v_add_f64 v[150:151], v[30:31], v[46:47]
	v_add_f64 v[160:161], v[46:47], -v[54:55]
	v_add_f64 v[162:163], v[44:45], -v[50:51]
	v_fma_f64 v[64:65], v[64:65], -0.5, v[24:25]
	v_fma_f64 v[66:67], v[66:67], -0.5, v[26:27]
	v_add_f64 v[24:25], v[68:69], v[156:157]
	v_fma_f64 v[56:57], v[56:57], -0.5, v[32:33]
	v_fma_f64 v[58:59], v[58:59], -0.5, v[34:35]
	;; [unrolled: 1-line block ×3, first 2 shown]
	v_add_f64 v[26:27], v[52:53], v[48:49]
	v_fma_f64 v[62:63], v[62:63], -0.5, v[30:31]
	v_add_f64 v[28:29], v[154:155], v[40:41]
	v_add_f64 v[30:31], v[42:43], v[158:159]
	;; [unrolled: 1-line block ×4, first 2 shown]
	v_fma_f64 v[36:37], v[38:39], s[0:1], v[64:65]
	v_fma_f64 v[40:41], v[38:39], s[2:3], v[64:65]
	;; [unrolled: 1-line block ×12, first 2 shown]
	ds_write_b128 v196, v[24:27]
	ds_write_b128 v196, v[44:47] offset:144
	ds_write_b128 v196, v[48:51] offset:288
	ds_write_b128 v197, v[32:35]
	ds_write_b128 v197, v[52:55] offset:144
	ds_write_b128 v197, v[56:59] offset:288
	s_and_saveexec_b32 s0, vcc_lo
	s_cbranch_execz .LBB0_37
; %bb.36:
	v_mov_b32_e32 v24, 4
	v_lshlrev_b32_sdwa v24, v24, v195 dst_sel:DWORD dst_unused:UNUSED_PAD src0_sel:DWORD src1_sel:WORD_0
	ds_write_b128 v24, v[28:31]
	ds_write_b128 v24, v[36:39] offset:144
	ds_write_b128 v24, v[40:43] offset:288
.LBB0_37:
	s_or_b32 exec_lo, exec_lo, s0
	s_waitcnt lgkmcnt(0)
	s_barrier
	buffer_gl0_inv
	ds_read_b128 v[32:35], v185
	ds_read_b128 v[24:27], v185 offset:3888
	ds_read_b128 v[52:55], v185 offset:10368
	;; [unrolled: 1-line block ×5, first 2 shown]
	s_and_saveexec_b32 s0, vcc_lo
	s_cbranch_execz .LBB0_39
; %bb.38:
	ds_read_b128 v[28:31], v185 offset:7776
	ds_read_b128 v[36:39], v185 offset:18144
	;; [unrolled: 1-line block ×3, first 2 shown]
.LBB0_39:
	s_or_b32 exec_lo, exec_lo, s0
	s_waitcnt lgkmcnt(3)
	v_mul_f64 v[60:61], v[78:79], v[54:55]
	v_mul_f64 v[62:63], v[78:79], v[52:53]
	s_waitcnt lgkmcnt(1)
	v_mul_f64 v[64:65], v[74:75], v[58:59]
	v_mul_f64 v[66:67], v[74:75], v[56:57]
	v_mul_f64 v[68:69], v[86:87], v[46:47]
	v_mul_f64 v[70:71], v[86:87], v[44:45]
	s_waitcnt lgkmcnt(0)
	v_mul_f64 v[74:75], v[82:83], v[50:51]
	v_mul_f64 v[78:79], v[82:83], v[48:49]
	;; [unrolled: 1-line block ×6, first 2 shown]
	s_mov_b32 s2, 0xe8584caa
	s_mov_b32 s3, 0xbfebb67a
	;; [unrolled: 1-line block ×4, first 2 shown]
	s_barrier
	buffer_gl0_inv
	v_fma_f64 v[52:53], v[76:77], v[52:53], v[60:61]
	v_fma_f64 v[54:55], v[76:77], v[54:55], -v[62:63]
	v_fma_f64 v[56:57], v[72:73], v[56:57], v[64:65]
	v_fma_f64 v[58:59], v[72:73], v[58:59], -v[66:67]
	;; [unrolled: 2-line block ×6, first 2 shown]
	v_add_f64 v[72:73], v[32:33], v[52:53]
	v_add_f64 v[40:41], v[52:53], v[56:57]
	;; [unrolled: 1-line block ×3, first 2 shown]
	v_add_f64 v[74:75], v[54:55], -v[58:59]
	v_add_f64 v[54:55], v[34:35], v[54:55]
	v_add_f64 v[48:49], v[60:61], v[64:65]
	;; [unrolled: 1-line block ×3, first 2 shown]
	v_add_f64 v[76:77], v[52:53], -v[56:57]
	v_add_f64 v[52:53], v[24:25], v[60:61]
	v_add_f64 v[68:69], v[44:45], v[36:37]
	v_add_f64 v[70:71], v[46:47], v[38:39]
	v_add_f64 v[78:79], v[26:27], v[62:63]
	v_add_f64 v[82:83], v[62:63], -v[66:67]
	v_add_f64 v[84:85], v[60:61], -v[64:65]
	v_fma_f64 v[80:81], v[40:41], -0.5, v[32:33]
	v_fma_f64 v[62:63], v[42:43], -0.5, v[34:35]
	v_add_f64 v[34:35], v[46:47], -v[38:39]
	v_add_f64 v[42:43], v[44:45], -v[36:37]
	v_fma_f64 v[24:25], v[48:49], -0.5, v[24:25]
	v_fma_f64 v[26:27], v[50:51], -0.5, v[26:27]
	v_add_f64 v[48:49], v[72:73], v[56:57]
	v_add_f64 v[50:51], v[54:55], v[58:59]
	v_fma_f64 v[32:33], v[68:69], -0.5, v[28:29]
	v_fma_f64 v[40:41], v[70:71], -0.5, v[30:31]
	v_add_f64 v[52:53], v[52:53], v[64:65]
	v_add_f64 v[54:55], v[78:79], v[66:67]
	v_fma_f64 v[56:57], v[74:75], s[2:3], v[80:81]
	v_fma_f64 v[58:59], v[76:77], s[0:1], v[62:63]
	;; [unrolled: 1-line block ×10, first 2 shown]
	ds_write_b128 v199, v[48:51]
	ds_write_b128 v199, v[56:59] offset:432
	ds_write_b128 v199, v[60:63] offset:864
	ds_write_b128 v200, v[52:55]
	ds_write_b128 v200, v[64:67] offset:432
	ds_write_b128 v200, v[68:71] offset:864
	s_and_saveexec_b32 s2, vcc_lo
	s_cbranch_execz .LBB0_41
; %bb.40:
	v_add_f64 v[46:47], v[46:47], v[30:31]
	v_add_f64 v[28:29], v[44:45], v[28:29]
	v_mul_f64 v[42:43], v[42:43], s[0:1]
	v_mul_f64 v[34:35], v[34:35], s[0:1]
	v_add_f64 v[38:39], v[38:39], v[46:47]
	v_add_f64 v[36:37], v[28:29], v[36:37]
	;; [unrolled: 1-line block ×3, first 2 shown]
	v_add_f64 v[28:29], v[32:33], -v[34:35]
	v_mov_b32_e32 v32, 4
	v_lshlrev_b32_sdwa v32, v32, v198 dst_sel:DWORD dst_unused:UNUSED_PAD src0_sel:DWORD src1_sel:WORD_0
	ds_write_b128 v32, v[36:39]
	ds_write_b128 v32, v[28:31] offset:432
	ds_write_b128 v32, v[24:27] offset:864
.LBB0_41:
	s_or_b32 exec_lo, exec_lo, s2
	s_waitcnt lgkmcnt(0)
	s_barrier
	buffer_gl0_inv
	ds_read_b128 v[28:31], v185 offset:3888
	ds_read_b128 v[32:35], v185 offset:7776
	ds_read_b128 v[36:39], v185 offset:15552
	ds_read_b128 v[40:43], v185 offset:23328
	ds_read_b128 v[44:47], v185 offset:19440
	ds_read_b128 v[48:51], v185 offset:11664
	ds_read_b128 v[52:55], v185 offset:27216
	ds_read_b128 v[56:59], v185
	s_mov_b32 s0, 0x667f3bcd
	s_mov_b32 s1, 0xbfe6a09e
	;; [unrolled: 1-line block ×4, first 2 shown]
	s_waitcnt lgkmcnt(0)
	s_barrier
	buffer_gl0_inv
	v_mul_f64 v[60:61], v[106:107], v[30:31]
	v_mul_f64 v[62:63], v[106:107], v[28:29]
	;; [unrolled: 1-line block ×14, first 2 shown]
	v_fma_f64 v[28:29], v[104:105], v[28:29], v[60:61]
	v_fma_f64 v[30:31], v[104:105], v[30:31], -v[62:63]
	v_fma_f64 v[32:33], v[100:101], v[32:33], v[64:65]
	v_fma_f64 v[34:35], v[100:101], v[34:35], -v[66:67]
	;; [unrolled: 2-line block ×7, first 2 shown]
	v_add_f64 v[36:37], v[56:57], -v[36:37]
	v_add_f64 v[38:39], v[58:59], -v[38:39]
	;; [unrolled: 1-line block ×8, first 2 shown]
	v_fma_f64 v[56:57], v[56:57], 2.0, -v[36:37]
	v_fma_f64 v[58:59], v[58:59], 2.0, -v[38:39]
	;; [unrolled: 1-line block ×6, first 2 shown]
	v_add_f64 v[60:61], v[36:37], v[42:43]
	v_add_f64 v[62:63], v[38:39], -v[40:41]
	v_fma_f64 v[40:41], v[48:49], 2.0, -v[52:53]
	v_fma_f64 v[42:43], v[50:51], 2.0, -v[54:55]
	v_add_f64 v[48:49], v[44:45], v[54:55]
	v_add_f64 v[50:51], v[46:47], -v[52:53]
	v_add_f64 v[52:53], v[56:57], -v[32:33]
	v_add_f64 v[54:55], v[58:59], -v[34:35]
	v_fma_f64 v[64:65], v[36:37], 2.0, -v[60:61]
	v_fma_f64 v[66:67], v[38:39], 2.0, -v[62:63]
	v_add_f64 v[32:33], v[28:29], -v[40:41]
	v_add_f64 v[34:35], v[30:31], -v[42:43]
	v_fma_f64 v[42:43], v[44:45], 2.0, -v[48:49]
	v_fma_f64 v[40:41], v[46:47], 2.0, -v[50:51]
	v_fma_f64 v[36:37], v[48:49], s[2:3], v[60:61]
	v_fma_f64 v[38:39], v[50:51], s[2:3], v[62:63]
	v_fma_f64 v[56:57], v[56:57], 2.0, -v[52:53]
	v_fma_f64 v[58:59], v[58:59], 2.0, -v[54:55]
	;; [unrolled: 1-line block ×4, first 2 shown]
	v_fma_f64 v[68:69], v[42:43], s[0:1], v[64:65]
	v_fma_f64 v[70:71], v[40:41], s[0:1], v[66:67]
	v_add_f64 v[28:29], v[52:53], v[34:35]
	v_add_f64 v[30:31], v[54:55], -v[32:33]
	v_fma_f64 v[32:33], v[50:51], s[2:3], v[36:37]
	v_fma_f64 v[34:35], v[48:49], s[0:1], v[38:39]
	v_add_f64 v[36:37], v[56:57], -v[44:45]
	v_add_f64 v[38:39], v[58:59], -v[46:47]
	v_fma_f64 v[40:41], v[40:41], s[2:3], v[68:69]
	v_fma_f64 v[42:43], v[42:43], s[0:1], v[70:71]
	v_fma_f64 v[44:45], v[52:53], 2.0, -v[28:29]
	v_fma_f64 v[46:47], v[54:55], 2.0, -v[30:31]
	;; [unrolled: 1-line block ×8, first 2 shown]
	ds_write_b128 v201, v[28:31] offset:7776
	ds_write_b128 v201, v[32:35] offset:9072
	;; [unrolled: 1-line block ×6, first 2 shown]
	ds_write_b128 v201, v[52:55]
	ds_write_b128 v201, v[56:59] offset:1296
	s_waitcnt lgkmcnt(0)
	s_barrier
	buffer_gl0_inv
	ds_read_b128 v[40:43], v185
	ds_read_b128 v[36:39], v185 offset:3888
	ds_read_b128 v[52:55], v185 offset:10368
	;; [unrolled: 1-line block ×5, first 2 shown]
	s_and_saveexec_b32 s0, vcc_lo
	s_cbranch_execz .LBB0_43
; %bb.42:
	ds_read_b128 v[28:31], v185 offset:7776
	ds_read_b128 v[32:35], v185 offset:18144
	;; [unrolled: 1-line block ×3, first 2 shown]
.LBB0_43:
	s_or_b32 exec_lo, exec_lo, s0
	s_waitcnt lgkmcnt(3)
	v_mul_f64 v[60:61], v[134:135], v[54:55]
	s_waitcnt lgkmcnt(1)
	v_mul_f64 v[62:63], v[138:139], v[58:59]
	v_mul_f64 v[64:65], v[134:135], v[52:53]
	;; [unrolled: 1-line block ×4, first 2 shown]
	s_waitcnt lgkmcnt(0)
	v_mul_f64 v[70:71], v[146:147], v[50:51]
	v_mul_f64 v[72:73], v[142:143], v[44:45]
	;; [unrolled: 1-line block ×3, first 2 shown]
	s_mov_b32 s0, 0xe8584caa
	s_mov_b32 s1, 0xbfebb67a
	;; [unrolled: 1-line block ×4, first 2 shown]
	v_fma_f64 v[52:53], v[132:133], v[52:53], v[60:61]
	v_fma_f64 v[56:57], v[136:137], v[56:57], v[62:63]
	v_fma_f64 v[54:55], v[132:133], v[54:55], -v[64:65]
	v_fma_f64 v[58:59], v[136:137], v[58:59], -v[66:67]
	v_fma_f64 v[44:45], v[140:141], v[44:45], v[68:69]
	v_fma_f64 v[48:49], v[144:145], v[48:49], v[70:71]
	v_fma_f64 v[46:47], v[140:141], v[46:47], -v[72:73]
	v_fma_f64 v[50:51], v[144:145], v[50:51], -v[74:75]
	v_add_f64 v[68:69], v[40:41], v[52:53]
	v_add_f64 v[60:61], v[52:53], v[56:57]
	v_add_f64 v[52:53], v[52:53], -v[56:57]
	v_add_f64 v[62:63], v[54:55], v[58:59]
	v_add_f64 v[70:71], v[54:55], -v[58:59]
	v_add_f64 v[64:65], v[44:45], v[48:49]
	v_add_f64 v[54:55], v[42:43], v[54:55]
	v_add_f64 v[66:67], v[46:47], v[50:51]
	v_add_f64 v[72:73], v[36:37], v[44:45]
	v_add_f64 v[74:75], v[38:39], v[46:47]
	v_add_f64 v[76:77], v[46:47], -v[50:51]
	v_add_f64 v[78:79], v[44:45], -v[48:49]
	v_fma_f64 v[60:61], v[60:61], -0.5, v[40:41]
	v_fma_f64 v[62:63], v[62:63], -0.5, v[42:43]
	;; [unrolled: 1-line block ×3, first 2 shown]
	v_add_f64 v[36:37], v[68:69], v[56:57]
	v_fma_f64 v[66:67], v[66:67], -0.5, v[38:39]
	v_add_f64 v[38:39], v[54:55], v[58:59]
	v_add_f64 v[40:41], v[72:73], v[48:49]
	;; [unrolled: 1-line block ×3, first 2 shown]
	v_fma_f64 v[44:45], v[70:71], s[0:1], v[60:61]
	v_fma_f64 v[48:49], v[70:71], s[2:3], v[60:61]
	;; [unrolled: 1-line block ×8, first 2 shown]
	ds_write_b128 v185, v[36:39]
	ds_write_b128 v185, v[40:43] offset:3888
	ds_write_b128 v185, v[44:47] offset:10368
	;; [unrolled: 1-line block ×5, first 2 shown]
	s_and_saveexec_b32 s4, vcc_lo
	s_cbranch_execz .LBB0_45
; %bb.44:
	v_mul_f64 v[36:37], v[126:127], v[32:33]
	v_mul_f64 v[38:39], v[130:131], v[24:25]
	;; [unrolled: 1-line block ×4, first 2 shown]
	v_fma_f64 v[34:35], v[124:125], v[34:35], -v[36:37]
	v_fma_f64 v[26:27], v[128:129], v[26:27], -v[38:39]
	v_fma_f64 v[32:33], v[124:125], v[32:33], v[40:41]
	v_fma_f64 v[24:25], v[128:129], v[24:25], v[42:43]
	v_add_f64 v[42:43], v[34:35], v[30:31]
	v_add_f64 v[36:37], v[34:35], v[26:27]
	v_add_f64 v[44:45], v[34:35], -v[26:27]
	v_add_f64 v[38:39], v[32:33], v[24:25]
	v_add_f64 v[40:41], v[32:33], -v[24:25]
	v_add_f64 v[32:33], v[32:33], v[28:29]
	v_add_f64 v[26:27], v[26:27], v[42:43]
	v_fma_f64 v[36:37], v[36:37], -0.5, v[30:31]
	v_fma_f64 v[28:29], v[38:39], -0.5, v[28:29]
	v_add_f64 v[24:25], v[32:33], v[24:25]
	v_fma_f64 v[34:35], v[40:41], s[2:3], v[36:37]
	v_fma_f64 v[30:31], v[40:41], s[0:1], v[36:37]
	;; [unrolled: 1-line block ×4, first 2 shown]
	ds_write_b128 v185, v[24:27] offset:7776
	ds_write_b128 v185, v[32:35] offset:18144
	;; [unrolled: 1-line block ×3, first 2 shown]
.LBB0_45:
	s_or_b32 exec_lo, exec_lo, s4
	s_waitcnt lgkmcnt(0)
	s_barrier
	buffer_gl0_inv
	ds_read_b128 v[24:27], v185
	ds_read_b128 v[28:31], v185 offset:10368
	ds_read_b128 v[32:35], v185 offset:20736
	;; [unrolled: 1-line block ×5, first 2 shown]
	v_mad_u64_u32 v[48:49], null, s10, v184, 0
	v_mad_u64_u32 v[50:51], null, s8, v188, 0
	s_mul_i32 s0, s9, 0x288
	s_mul_hi_u32 s1, s8, 0x288
	s_mul_i32 s4, s8, 0x288
	s_add_i32 s5, s1, s0
	s_mov_b32 s2, 0xa88f4696
	s_mov_b32 s3, 0x3f40db20
	v_mad_u64_u32 v[60:61], null, s11, v184, v[49:50]
	s_lshl_b64 s[4:5], s[4:5], 4
	s_mul_i32 s1, s9, 0xfffffbe3
	s_waitcnt lgkmcnt(5)
	v_mul_f64 v[52:53], v[2:3], v[26:27]
	v_mul_f64 v[2:3], v[2:3], v[24:25]
	s_waitcnt lgkmcnt(4)
	v_mul_f64 v[54:55], v[14:15], v[30:31]
	v_mul_f64 v[14:15], v[14:15], v[28:29]
	;; [unrolled: 3-line block ×5, first 2 shown]
	v_mov_b32_e32 v49, v60
	v_mad_u64_u32 v[61:62], null, s9, v188, v[51:52]
	v_mul_f64 v[62:63], v[18:19], v[42:43]
	v_mul_f64 v[18:19], v[18:19], v[40:41]
	v_fma_f64 v[24:25], v[0:1], v[24:25], v[52:53]
	v_fma_f64 v[2:3], v[0:1], v[26:27], -v[2:3]
	v_lshlrev_b64 v[0:1], 4, v[48:49]
	v_fma_f64 v[26:27], v[12:13], v[28:29], v[54:55]
	v_mov_b32_e32 v51, v61
	v_fma_f64 v[12:13], v[12:13], v[30:31], -v[14:15]
	v_fma_f64 v[28:29], v[8:9], v[32:33], v[56:57]
	v_fma_f64 v[10:11], v[8:9], v[34:35], -v[10:11]
	v_fma_f64 v[30:31], v[4:5], v[36:37], v[58:59]
	v_fma_f64 v[32:33], v[4:5], v[38:39], -v[6:7]
	v_lshlrev_b64 v[14:15], 4, v[50:51]
	v_fma_f64 v[38:39], v[20:21], v[44:45], v[64:65]
	v_fma_f64 v[22:23], v[20:21], v[46:47], -v[22:23]
	v_add_co_u32 v0, s0, s6, v0
	v_add_co_ci_u32_e64 v1, s0, s7, v1, s0
	s_mul_i32 s6, s8, 0xfffffbe3
	v_add_co_u32 v34, s0, v0, v14
	v_fma_f64 v[36:37], v[16:17], v[40:41], v[62:63]
	v_fma_f64 v[18:19], v[16:17], v[42:43], -v[18:19]
	v_add_co_ci_u32_e64 v35, s0, v1, v15, s0
	v_mul_f64 v[0:1], v[24:25], s[2:3]
	v_mul_f64 v[2:3], v[2:3], s[2:3]
	v_add_co_u32 v24, s0, v34, s4
	v_add_co_ci_u32_e64 v25, s0, s5, v35, s0
	s_mul_hi_u32 s0, s8, 0xfffffbe3
	v_mul_f64 v[4:5], v[26:27], s[2:3]
	s_sub_i32 s0, s0, s8
	v_mul_f64 v[6:7], v[12:13], s[2:3]
	s_add_i32 s7, s0, s1
	v_add_co_u32 v26, s0, v24, s4
	v_mul_f64 v[8:9], v[28:29], s[2:3]
	v_mul_f64 v[10:11], v[10:11], s[2:3]
	;; [unrolled: 1-line block ×4, first 2 shown]
	v_add_co_ci_u32_e64 v27, s0, s5, v25, s0
	v_mul_f64 v[16:17], v[36:37], s[2:3]
	v_mul_f64 v[18:19], v[18:19], s[2:3]
	s_lshl_b64 s[6:7], s[6:7], 4
	v_mul_f64 v[20:21], v[38:39], s[2:3]
	v_mul_f64 v[22:23], v[22:23], s[2:3]
	v_add_co_u32 v28, s0, v26, s6
	v_add_co_ci_u32_e64 v29, s0, s7, v27, s0
	global_store_dwordx4 v[34:35], v[0:3], off
	v_add_co_u32 v30, s0, v28, s4
	v_add_co_ci_u32_e64 v31, s0, s5, v29, s0
	v_add_co_u32 v0, s0, v30, s4
	v_add_co_ci_u32_e64 v1, s0, s5, v31, s0
	global_store_dwordx4 v[24:25], v[4:7], off
	global_store_dwordx4 v[26:27], v[8:11], off
	;; [unrolled: 1-line block ×5, first 2 shown]
	s_and_b32 exec_lo, exec_lo, vcc_lo
	s_cbranch_execz .LBB0_47
; %bb.46:
	v_add_co_u32 v2, vcc_lo, 0x1800, v186
	v_add_co_ci_u32_e32 v3, vcc_lo, 0, v187, vcc_lo
	v_add_co_u32 v6, vcc_lo, 0x4000, v186
	v_add_co_ci_u32_e32 v7, vcc_lo, 0, v187, vcc_lo
	;; [unrolled: 2-line block ×3, first 2 shown]
	s_clause 0x2
	global_load_dwordx4 v[2:5], v[2:3], off offset:1632
	global_load_dwordx4 v[6:9], v[6:7], off offset:1760
	;; [unrolled: 1-line block ×3, first 2 shown]
	ds_read_b128 v[14:17], v185 offset:7776
	ds_read_b128 v[18:21], v185 offset:18144
	;; [unrolled: 1-line block ×3, first 2 shown]
	v_add_co_u32 v0, vcc_lo, v0, s6
	v_add_co_ci_u32_e32 v1, vcc_lo, s7, v1, vcc_lo
	s_waitcnt vmcnt(2) lgkmcnt(2)
	v_mul_f64 v[26:27], v[16:17], v[4:5]
	v_mul_f64 v[4:5], v[14:15], v[4:5]
	s_waitcnt vmcnt(1) lgkmcnt(1)
	v_mul_f64 v[28:29], v[20:21], v[8:9]
	v_mul_f64 v[8:9], v[18:19], v[8:9]
	;; [unrolled: 3-line block ×3, first 2 shown]
	v_fma_f64 v[14:15], v[14:15], v[2:3], v[26:27]
	v_fma_f64 v[4:5], v[2:3], v[16:17], -v[4:5]
	v_fma_f64 v[16:17], v[18:19], v[6:7], v[28:29]
	v_fma_f64 v[8:9], v[6:7], v[20:21], -v[8:9]
	;; [unrolled: 2-line block ×3, first 2 shown]
	v_mul_f64 v[2:3], v[14:15], s[2:3]
	v_mul_f64 v[4:5], v[4:5], s[2:3]
	;; [unrolled: 1-line block ×6, first 2 shown]
	v_add_co_u32 v14, vcc_lo, v0, s4
	v_add_co_ci_u32_e32 v15, vcc_lo, s5, v1, vcc_lo
	v_add_co_u32 v16, vcc_lo, v14, s4
	v_add_co_ci_u32_e32 v17, vcc_lo, s5, v15, vcc_lo
	global_store_dwordx4 v[0:1], v[2:5], off
	global_store_dwordx4 v[14:15], v[6:9], off
	;; [unrolled: 1-line block ×3, first 2 shown]
.LBB0_47:
	s_endpgm
	.section	.rodata,"a",@progbits
	.p2align	6, 0x0
	.amdhsa_kernel bluestein_single_fwd_len1944_dim1_dp_op_CI_CI
		.amdhsa_group_segment_fixed_size 31104
		.amdhsa_private_segment_fixed_size 0
		.amdhsa_kernarg_size 104
		.amdhsa_user_sgpr_count 6
		.amdhsa_user_sgpr_private_segment_buffer 1
		.amdhsa_user_sgpr_dispatch_ptr 0
		.amdhsa_user_sgpr_queue_ptr 0
		.amdhsa_user_sgpr_kernarg_segment_ptr 1
		.amdhsa_user_sgpr_dispatch_id 0
		.amdhsa_user_sgpr_flat_scratch_init 0
		.amdhsa_user_sgpr_private_segment_size 0
		.amdhsa_wavefront_size32 1
		.amdhsa_uses_dynamic_stack 0
		.amdhsa_system_sgpr_private_segment_wavefront_offset 0
		.amdhsa_system_sgpr_workgroup_id_x 1
		.amdhsa_system_sgpr_workgroup_id_y 0
		.amdhsa_system_sgpr_workgroup_id_z 0
		.amdhsa_system_sgpr_workgroup_info 0
		.amdhsa_system_vgpr_workitem_id 0
		.amdhsa_next_free_vgpr 238
		.amdhsa_next_free_sgpr 16
		.amdhsa_reserve_vcc 1
		.amdhsa_reserve_flat_scratch 0
		.amdhsa_float_round_mode_32 0
		.amdhsa_float_round_mode_16_64 0
		.amdhsa_float_denorm_mode_32 3
		.amdhsa_float_denorm_mode_16_64 3
		.amdhsa_dx10_clamp 1
		.amdhsa_ieee_mode 1
		.amdhsa_fp16_overflow 0
		.amdhsa_workgroup_processor_mode 1
		.amdhsa_memory_ordered 1
		.amdhsa_forward_progress 0
		.amdhsa_shared_vgpr_count 0
		.amdhsa_exception_fp_ieee_invalid_op 0
		.amdhsa_exception_fp_denorm_src 0
		.amdhsa_exception_fp_ieee_div_zero 0
		.amdhsa_exception_fp_ieee_overflow 0
		.amdhsa_exception_fp_ieee_underflow 0
		.amdhsa_exception_fp_ieee_inexact 0
		.amdhsa_exception_int_div_zero 0
	.end_amdhsa_kernel
	.text
.Lfunc_end0:
	.size	bluestein_single_fwd_len1944_dim1_dp_op_CI_CI, .Lfunc_end0-bluestein_single_fwd_len1944_dim1_dp_op_CI_CI
                                        ; -- End function
	.section	.AMDGPU.csdata,"",@progbits
; Kernel info:
; codeLenInByte = 13212
; NumSgprs: 18
; NumVgprs: 238
; ScratchSize: 0
; MemoryBound: 0
; FloatMode: 240
; IeeeMode: 1
; LDSByteSize: 31104 bytes/workgroup (compile time only)
; SGPRBlocks: 2
; VGPRBlocks: 29
; NumSGPRsForWavesPerEU: 18
; NumVGPRsForWavesPerEU: 238
; Occupancy: 4
; WaveLimiterHint : 1
; COMPUTE_PGM_RSRC2:SCRATCH_EN: 0
; COMPUTE_PGM_RSRC2:USER_SGPR: 6
; COMPUTE_PGM_RSRC2:TRAP_HANDLER: 0
; COMPUTE_PGM_RSRC2:TGID_X_EN: 1
; COMPUTE_PGM_RSRC2:TGID_Y_EN: 0
; COMPUTE_PGM_RSRC2:TGID_Z_EN: 0
; COMPUTE_PGM_RSRC2:TIDIG_COMP_CNT: 0
	.text
	.p2alignl 6, 3214868480
	.fill 48, 4, 3214868480
	.type	__hip_cuid_d7fe298508609ac0,@object ; @__hip_cuid_d7fe298508609ac0
	.section	.bss,"aw",@nobits
	.globl	__hip_cuid_d7fe298508609ac0
__hip_cuid_d7fe298508609ac0:
	.byte	0                               ; 0x0
	.size	__hip_cuid_d7fe298508609ac0, 1

	.ident	"AMD clang version 19.0.0git (https://github.com/RadeonOpenCompute/llvm-project roc-6.4.0 25133 c7fe45cf4b819c5991fe208aaa96edf142730f1d)"
	.section	".note.GNU-stack","",@progbits
	.addrsig
	.addrsig_sym __hip_cuid_d7fe298508609ac0
	.amdgpu_metadata
---
amdhsa.kernels:
  - .args:
      - .actual_access:  read_only
        .address_space:  global
        .offset:         0
        .size:           8
        .value_kind:     global_buffer
      - .actual_access:  read_only
        .address_space:  global
        .offset:         8
        .size:           8
        .value_kind:     global_buffer
      - .actual_access:  read_only
        .address_space:  global
        .offset:         16
        .size:           8
        .value_kind:     global_buffer
      - .actual_access:  read_only
        .address_space:  global
        .offset:         24
        .size:           8
        .value_kind:     global_buffer
      - .actual_access:  read_only
        .address_space:  global
        .offset:         32
        .size:           8
        .value_kind:     global_buffer
      - .offset:         40
        .size:           8
        .value_kind:     by_value
      - .address_space:  global
        .offset:         48
        .size:           8
        .value_kind:     global_buffer
      - .address_space:  global
        .offset:         56
        .size:           8
        .value_kind:     global_buffer
      - .address_space:  global
        .offset:         64
        .size:           8
        .value_kind:     global_buffer
      - .address_space:  global
        .offset:         72
        .size:           8
        .value_kind:     global_buffer
      - .offset:         80
        .size:           4
        .value_kind:     by_value
      - .address_space:  global
        .offset:         88
        .size:           8
        .value_kind:     global_buffer
      - .address_space:  global
        .offset:         96
        .size:           8
        .value_kind:     global_buffer
    .group_segment_fixed_size: 31104
    .kernarg_segment_align: 8
    .kernarg_segment_size: 104
    .language:       OpenCL C
    .language_version:
      - 2
      - 0
    .max_flat_workgroup_size: 243
    .name:           bluestein_single_fwd_len1944_dim1_dp_op_CI_CI
    .private_segment_fixed_size: 0
    .sgpr_count:     18
    .sgpr_spill_count: 0
    .symbol:         bluestein_single_fwd_len1944_dim1_dp_op_CI_CI.kd
    .uniform_work_group_size: 1
    .uses_dynamic_stack: false
    .vgpr_count:     238
    .vgpr_spill_count: 0
    .wavefront_size: 32
    .workgroup_processor_mode: 1
amdhsa.target:   amdgcn-amd-amdhsa--gfx1030
amdhsa.version:
  - 1
  - 2
...

	.end_amdgpu_metadata
